;; amdgpu-corpus repo=ROCm/rocFFT kind=compiled arch=gfx1030 opt=O3
	.text
	.amdgcn_target "amdgcn-amd-amdhsa--gfx1030"
	.amdhsa_code_object_version 6
	.protected	fft_rtc_back_len66_factors_6_11_wgs_253_tpt_11_half_ip_CI_sbrr_dirReg ; -- Begin function fft_rtc_back_len66_factors_6_11_wgs_253_tpt_11_half_ip_CI_sbrr_dirReg
	.globl	fft_rtc_back_len66_factors_6_11_wgs_253_tpt_11_half_ip_CI_sbrr_dirReg
	.p2align	8
	.type	fft_rtc_back_len66_factors_6_11_wgs_253_tpt_11_half_ip_CI_sbrr_dirReg,@function
fft_rtc_back_len66_factors_6_11_wgs_253_tpt_11_half_ip_CI_sbrr_dirReg: ; @fft_rtc_back_len66_factors_6_11_wgs_253_tpt_11_half_ip_CI_sbrr_dirReg
; %bb.0:
	s_clause 0x1
	s_load_dwordx2 s[14:15], s[4:5], 0x18
	s_load_dwordx4 s[8:11], s[4:5], 0x0
	v_mul_u32_u24_e32 v1, 0x1746, v0
	v_mov_b32_e32 v3, 0
	v_mov_b32_e32 v5, 0
	v_mov_b32_e32 v6, 0
	s_load_dwordx2 s[12:13], s[4:5], 0x50
	s_waitcnt lgkmcnt(0)
	s_load_dwordx2 s[2:3], s[14:15], 0x0
	v_lshrrev_b32_e32 v1, 16, v1
	v_cmp_lt_u64_e64 s0, s[10:11], 2
	v_mad_u64_u32 v[1:2], null, s6, 23, v[1:2]
	v_mov_b32_e32 v2, v3
	s_and_b32 vcc_lo, exec_lo, s0
	v_mov_b32_e32 v10, v2
	v_mov_b32_e32 v9, v1
	s_cbranch_vccnz .LBB0_8
; %bb.1:
	s_load_dwordx2 s[0:1], s[4:5], 0x10
	v_mov_b32_e32 v5, 0
	v_mov_b32_e32 v8, v2
	s_add_u32 s6, s14, 8
	v_mov_b32_e32 v6, 0
	v_mov_b32_e32 v7, v1
	s_addc_u32 s7, s15, 0
	s_mov_b64 s[18:19], 1
	s_waitcnt lgkmcnt(0)
	s_add_u32 s16, s0, 8
	s_addc_u32 s17, s1, 0
.LBB0_2:                                ; =>This Inner Loop Header: Depth=1
	s_load_dwordx2 s[20:21], s[16:17], 0x0
                                        ; implicit-def: $vgpr9_vgpr10
	s_mov_b32 s0, exec_lo
	s_waitcnt lgkmcnt(0)
	v_or_b32_e32 v4, s21, v8
	v_cmpx_ne_u64_e32 0, v[3:4]
	s_xor_b32 s1, exec_lo, s0
	s_cbranch_execz .LBB0_4
; %bb.3:                                ;   in Loop: Header=BB0_2 Depth=1
	v_cvt_f32_u32_e32 v2, s20
	v_cvt_f32_u32_e32 v4, s21
	s_sub_u32 s0, 0, s20
	s_subb_u32 s22, 0, s21
	v_fmac_f32_e32 v2, 0x4f800000, v4
	v_rcp_f32_e32 v2, v2
	v_mul_f32_e32 v2, 0x5f7ffffc, v2
	v_mul_f32_e32 v4, 0x2f800000, v2
	v_trunc_f32_e32 v4, v4
	v_fmac_f32_e32 v2, 0xcf800000, v4
	v_cvt_u32_f32_e32 v4, v4
	v_cvt_u32_f32_e32 v2, v2
	v_mul_lo_u32 v9, s0, v4
	v_mul_hi_u32 v10, s0, v2
	v_mul_lo_u32 v11, s22, v2
	v_add_nc_u32_e32 v9, v10, v9
	v_mul_lo_u32 v10, s0, v2
	v_add_nc_u32_e32 v9, v9, v11
	v_mul_hi_u32 v11, v2, v10
	v_mul_lo_u32 v12, v2, v9
	v_mul_hi_u32 v13, v2, v9
	v_mul_hi_u32 v14, v4, v10
	v_mul_lo_u32 v10, v4, v10
	v_mul_hi_u32 v15, v4, v9
	v_mul_lo_u32 v9, v4, v9
	v_add_co_u32 v11, vcc_lo, v11, v12
	v_add_co_ci_u32_e32 v12, vcc_lo, 0, v13, vcc_lo
	v_add_co_u32 v10, vcc_lo, v11, v10
	v_add_co_ci_u32_e32 v10, vcc_lo, v12, v14, vcc_lo
	v_add_co_ci_u32_e32 v11, vcc_lo, 0, v15, vcc_lo
	v_add_co_u32 v9, vcc_lo, v10, v9
	v_add_co_ci_u32_e32 v10, vcc_lo, 0, v11, vcc_lo
	v_add_co_u32 v2, vcc_lo, v2, v9
	v_add_co_ci_u32_e32 v4, vcc_lo, v4, v10, vcc_lo
	v_mul_hi_u32 v9, s0, v2
	v_mul_lo_u32 v11, s22, v2
	v_mul_lo_u32 v10, s0, v4
	v_add_nc_u32_e32 v9, v9, v10
	v_mul_lo_u32 v10, s0, v2
	v_add_nc_u32_e32 v9, v9, v11
	v_mul_hi_u32 v11, v2, v10
	v_mul_lo_u32 v12, v2, v9
	v_mul_hi_u32 v13, v2, v9
	v_mul_hi_u32 v14, v4, v10
	v_mul_lo_u32 v10, v4, v10
	v_mul_hi_u32 v15, v4, v9
	v_mul_lo_u32 v9, v4, v9
	v_add_co_u32 v11, vcc_lo, v11, v12
	v_add_co_ci_u32_e32 v12, vcc_lo, 0, v13, vcc_lo
	v_add_co_u32 v10, vcc_lo, v11, v10
	v_add_co_ci_u32_e32 v10, vcc_lo, v12, v14, vcc_lo
	v_add_co_ci_u32_e32 v11, vcc_lo, 0, v15, vcc_lo
	v_add_co_u32 v9, vcc_lo, v10, v9
	v_add_co_ci_u32_e32 v10, vcc_lo, 0, v11, vcc_lo
	v_add_co_u32 v2, vcc_lo, v2, v9
	v_add_co_ci_u32_e32 v4, vcc_lo, v4, v10, vcc_lo
	v_mul_hi_u32 v15, v7, v2
	v_mad_u64_u32 v[11:12], null, v8, v2, 0
	v_mad_u64_u32 v[9:10], null, v7, v4, 0
	v_mad_u64_u32 v[13:14], null, v8, v4, 0
	v_add_co_u32 v2, vcc_lo, v15, v9
	v_add_co_ci_u32_e32 v4, vcc_lo, 0, v10, vcc_lo
	v_add_co_u32 v2, vcc_lo, v2, v11
	v_add_co_ci_u32_e32 v2, vcc_lo, v4, v12, vcc_lo
	v_add_co_ci_u32_e32 v4, vcc_lo, 0, v14, vcc_lo
	v_add_co_u32 v2, vcc_lo, v2, v13
	v_add_co_ci_u32_e32 v4, vcc_lo, 0, v4, vcc_lo
	v_mul_lo_u32 v11, s21, v2
	v_mad_u64_u32 v[9:10], null, s20, v2, 0
	v_mul_lo_u32 v12, s20, v4
	v_sub_co_u32 v9, vcc_lo, v7, v9
	v_add3_u32 v10, v10, v12, v11
	v_sub_nc_u32_e32 v11, v8, v10
	v_subrev_co_ci_u32_e64 v11, s0, s21, v11, vcc_lo
	v_add_co_u32 v12, s0, v2, 2
	v_add_co_ci_u32_e64 v13, s0, 0, v4, s0
	v_sub_co_u32 v14, s0, v9, s20
	v_sub_co_ci_u32_e32 v10, vcc_lo, v8, v10, vcc_lo
	v_subrev_co_ci_u32_e64 v11, s0, 0, v11, s0
	v_cmp_le_u32_e32 vcc_lo, s20, v14
	v_cmp_eq_u32_e64 s0, s21, v10
	v_cndmask_b32_e64 v14, 0, -1, vcc_lo
	v_cmp_le_u32_e32 vcc_lo, s21, v11
	v_cndmask_b32_e64 v15, 0, -1, vcc_lo
	v_cmp_le_u32_e32 vcc_lo, s20, v9
	;; [unrolled: 2-line block ×3, first 2 shown]
	v_cndmask_b32_e64 v16, 0, -1, vcc_lo
	v_cmp_eq_u32_e32 vcc_lo, s21, v11
	v_cndmask_b32_e64 v9, v16, v9, s0
	v_cndmask_b32_e32 v11, v15, v14, vcc_lo
	v_add_co_u32 v14, vcc_lo, v2, 1
	v_add_co_ci_u32_e32 v15, vcc_lo, 0, v4, vcc_lo
	v_cmp_ne_u32_e32 vcc_lo, 0, v11
	v_cndmask_b32_e32 v10, v15, v13, vcc_lo
	v_cndmask_b32_e32 v11, v14, v12, vcc_lo
	v_cmp_ne_u32_e32 vcc_lo, 0, v9
	v_cndmask_b32_e32 v10, v4, v10, vcc_lo
	v_cndmask_b32_e32 v9, v2, v11, vcc_lo
.LBB0_4:                                ;   in Loop: Header=BB0_2 Depth=1
	s_andn2_saveexec_b32 s0, s1
	s_cbranch_execz .LBB0_6
; %bb.5:                                ;   in Loop: Header=BB0_2 Depth=1
	v_cvt_f32_u32_e32 v2, s20
	s_sub_i32 s1, 0, s20
	v_rcp_iflag_f32_e32 v2, v2
	v_mul_f32_e32 v2, 0x4f7ffffe, v2
	v_cvt_u32_f32_e32 v2, v2
	v_mul_lo_u32 v4, s1, v2
	v_mul_hi_u32 v4, v2, v4
	v_add_nc_u32_e32 v2, v2, v4
	v_mul_hi_u32 v2, v7, v2
	v_mul_lo_u32 v4, v2, s20
	v_add_nc_u32_e32 v9, 1, v2
	v_sub_nc_u32_e32 v4, v7, v4
	v_subrev_nc_u32_e32 v10, s20, v4
	v_cmp_le_u32_e32 vcc_lo, s20, v4
	v_cndmask_b32_e32 v4, v4, v10, vcc_lo
	v_cndmask_b32_e32 v2, v2, v9, vcc_lo
	v_mov_b32_e32 v10, v3
	v_cmp_le_u32_e32 vcc_lo, s20, v4
	v_add_nc_u32_e32 v9, 1, v2
	v_cndmask_b32_e32 v9, v2, v9, vcc_lo
.LBB0_6:                                ;   in Loop: Header=BB0_2 Depth=1
	s_or_b32 exec_lo, exec_lo, s0
	s_load_dwordx2 s[0:1], s[6:7], 0x0
	v_mul_lo_u32 v2, v10, s20
	v_mul_lo_u32 v4, v9, s21
	v_mad_u64_u32 v[11:12], null, v9, s20, 0
	s_add_u32 s18, s18, 1
	s_addc_u32 s19, s19, 0
	s_add_u32 s6, s6, 8
	s_addc_u32 s7, s7, 0
	s_add_u32 s16, s16, 8
	s_addc_u32 s17, s17, 0
	v_add3_u32 v2, v12, v4, v2
	v_sub_co_u32 v4, vcc_lo, v7, v11
	v_sub_co_ci_u32_e32 v2, vcc_lo, v8, v2, vcc_lo
	s_waitcnt lgkmcnt(0)
	v_mul_lo_u32 v7, s1, v4
	v_mul_lo_u32 v2, s0, v2
	v_mad_u64_u32 v[5:6], null, s0, v4, v[5:6]
	v_cmp_ge_u64_e64 s0, s[18:19], s[10:11]
	s_and_b32 vcc_lo, exec_lo, s0
	v_add3_u32 v6, v7, v6, v2
	s_cbranch_vccnz .LBB0_8
; %bb.7:                                ;   in Loop: Header=BB0_2 Depth=1
	v_mov_b32_e32 v7, v9
	v_mov_b32_e32 v8, v10
	s_branch .LBB0_2
.LBB0_8:
	s_lshl_b64 s[0:1], s[10:11], 3
	s_add_u32 s0, s14, s0
	s_addc_u32 s1, s15, s1
	s_load_dwordx2 s[0:1], s[0:1], 0x0
	s_load_dwordx2 s[4:5], s[4:5], 0x20
	s_waitcnt lgkmcnt(0)
	v_mul_lo_u32 v4, s0, v10
	v_mul_lo_u32 v7, s1, v9
	v_mad_u64_u32 v[2:3], null, s0, v9, v[5:6]
	v_mul_hi_u32 v5, 0x1745d175, v0
	v_cmp_gt_u64_e32 vcc_lo, s[4:5], v[9:10]
                                        ; implicit-def: $vgpr6
	v_add3_u32 v3, v7, v3, v4
	v_mul_u32_u24_e32 v4, 11, v5
                                        ; implicit-def: $vgpr5
	v_lshlrev_b64 v[22:23], 2, v[2:3]
                                        ; implicit-def: $vgpr3
                                        ; implicit-def: $vgpr2
	v_sub_nc_u32_e32 v26, v0, v4
                                        ; implicit-def: $vgpr4
                                        ; implicit-def: $vgpr0
	s_and_saveexec_b32 s1, vcc_lo
	s_cbranch_execz .LBB0_10
; %bb.9:
	v_mad_u64_u32 v[2:3], null, s2, v26, 0
	v_add_nc_u32_e32 v11, 11, v26
	v_add_nc_u32_e32 v13, 22, v26
	;; [unrolled: 1-line block ×4, first 2 shown]
	v_add_co_u32 v18, s0, s12, v22
	v_mad_u64_u32 v[4:5], null, s2, v11, 0
	v_mov_b32_e32 v0, v3
	v_mad_u64_u32 v[9:10], null, s2, v14, 0
	v_add_co_ci_u32_e64 v19, s0, s13, v23, s0
	v_mad_u64_u32 v[6:7], null, s3, v26, v[0:1]
	v_mov_b32_e32 v0, v5
	v_mad_u64_u32 v[7:8], null, s2, v13, 0
	v_mad_u64_u32 v[11:12], null, s3, v11, v[0:1]
	v_mov_b32_e32 v3, v6
	v_add_nc_u32_e32 v6, 44, v26
	v_mov_b32_e32 v0, v8
	v_lshlrev_b64 v[2:3], 2, v[2:3]
	v_mov_b32_e32 v5, v11
	v_mad_u64_u32 v[11:12], null, s3, v13, v[0:1]
	v_mov_b32_e32 v0, v10
	v_mad_u64_u32 v[12:13], null, s2, v6, 0
	v_lshlrev_b64 v[4:5], 2, v[4:5]
	v_add_co_u32 v2, s0, v18, v2
	v_mad_u64_u32 v[14:15], null, s3, v14, v[0:1]
	v_mad_u64_u32 v[15:16], null, s2, v17, 0
	v_mov_b32_e32 v0, v13
	v_mov_b32_e32 v8, v11
	v_add_co_ci_u32_e64 v3, s0, v19, v3, s0
	v_mov_b32_e32 v10, v14
	v_mad_u64_u32 v[13:14], null, s3, v6, v[0:1]
	v_mov_b32_e32 v0, v16
	v_lshlrev_b64 v[6:7], 2, v[7:8]
	v_add_co_u32 v4, s0, v18, v4
	v_lshlrev_b64 v[8:9], 2, v[9:10]
	v_mad_u64_u32 v[16:17], null, s3, v17, v[0:1]
	v_add_co_ci_u32_e64 v5, s0, v19, v5, s0
	v_add_co_u32 v6, s0, v18, v6
	v_lshlrev_b64 v[10:11], 2, v[12:13]
	v_add_co_ci_u32_e64 v7, s0, v19, v7, s0
	v_add_co_u32 v8, s0, v18, v8
	v_lshlrev_b64 v[12:13], 2, v[15:16]
	v_add_co_ci_u32_e64 v9, s0, v19, v9, s0
	v_add_co_u32 v10, s0, v18, v10
	v_add_co_ci_u32_e64 v11, s0, v19, v11, s0
	v_add_co_u32 v12, s0, v18, v12
	v_add_co_ci_u32_e64 v13, s0, v19, v13, s0
	s_clause 0x5
	global_load_dword v3, v[2:3], off
	global_load_dword v5, v[4:5], off
	global_load_dword v4, v[6:7], off
	global_load_dword v6, v[8:9], off
	global_load_dword v2, v[10:11], off
	global_load_dword v0, v[12:13], off
.LBB0_10:
	s_or_b32 exec_lo, exec_lo, s1
	v_mul_hi_u32 v8, 0xb21642c9, v1
	s_waitcnt vmcnt(0)
	v_pk_add_f16 v7, v6, v0
	v_pk_add_f16 v10, v6, v0 neg_lo:[0,1] neg_hi:[0,1]
	v_pk_add_f16 v9, v3, v4
	v_mul_u32_u24_e32 v11, 6, v26
	v_cmp_gt_u32_e64 s0, 6, v26
	v_pk_fma_f16 v7, v7, 0.5, v5 op_sel_hi:[1,0,1] neg_lo:[1,0,0] neg_hi:[1,0,0]
	v_pk_add_f16 v5, v5, v6
	v_pk_add_f16 v6, v4, v2
	v_lshrrev_b32_e32 v8, 4, v8
	v_pk_add_f16 v4, v4, v2 neg_lo:[0,1] neg_hi:[0,1]
	v_pk_fma_f16 v12, 0x3aee, v10, v7 op_sel:[0,0,1] op_sel_hi:[0,1,0] neg_lo:[0,1,0] neg_hi:[0,1,0]
	v_pk_add_f16 v2, v9, v2
	v_pk_fma_f16 v3, v6, 0.5, v3 op_sel_hi:[1,0,1] neg_lo:[1,0,0] neg_hi:[1,0,0]
	v_pk_fma_f16 v6, 0x3aee, v10, v7 op_sel:[0,0,1] op_sel_hi:[0,1,0]
	v_mul_lo_u32 v7, v8, 23
	v_pk_mul_f16 v8, 0x3aee, v12 op_sel_hi:[0,1]
                                        ; implicit-def: $vgpr35
                                        ; implicit-def: $vgpr17
                                        ; implicit-def: $vgpr34
                                        ; implicit-def: $vgpr32
                                        ; implicit-def: $vgpr15
                                        ; implicit-def: $vgpr37
                                        ; implicit-def: $vgpr36
	v_pk_fma_f16 v9, 0x3aee, v4, v3 op_sel:[0,0,1] op_sel_hi:[0,1,0] neg_lo:[0,1,0] neg_hi:[0,1,0]
	v_pk_fma_f16 v3, 0x3aee, v4, v3 op_sel:[0,0,1] op_sel_hi:[0,1,0]
	v_lshrrev_b32_e32 v4, 16, v6
	v_pk_fma_f16 v10, 0xb8003800, v6, v8 op_sel:[0,0,1] op_sel_hi:[1,1,0]
	v_pk_fma_f16 v13, 0xb8003800, v6, v8 op_sel:[0,0,1] op_sel_hi:[1,1,0] neg_lo:[0,0,1] neg_hi:[0,0,1]
	v_sub_nc_u32_e32 v1, v1, v7
	v_mul_f16_e32 v7, -0.5, v12
	v_lshrrev_b32_e32 v8, 16, v12
	v_mul_f16_e32 v6, 0x3aee, v6
	v_bfi_b32 v12, 0xffff, v10, v13
	v_mul_u32_u24_e32 v1, 0x42, v1
	v_fmac_f16_e32 v7, 0x3aee, v4
	v_pk_add_f16 v4, v5, v0
	v_fma_f16 v5, v8, 0.5, -v6
	v_lshl_add_u32 v0, v11, 2, 0
	v_pk_add_f16 v28, v3, v12
	v_add_f16_e32 v29, v9, v7
	v_alignbit_b32 v11, v3, v9, 16
	v_add_f16_sdwa v8, v9, v5 dst_sel:DWORD dst_unused:UNUSED_PAD src0_sel:WORD_1 src1_sel:DWORD
	v_lshl_add_u32 v6, v1, 2, v0
	v_pack_b32_f16 v5, v5, v10
	v_alignbit_b32 v12, v29, v28, 16
	v_alignbit_b32 v3, v9, v3, 16
	v_pack_b32_f16 v14, v8, v28
	v_alignbit_b32 v7, v7, v13, 16
	v_pk_add_f16 v10, v2, v4 neg_lo:[0,1] neg_hi:[0,1]
	v_pk_add_f16 v11, v11, v5 neg_lo:[0,1] neg_hi:[0,1]
	v_pk_add_f16 v27, v2, v4
	ds_write2_b32 v6, v14, v12 offset0:1 offset1:2
	v_pk_add_f16 v12, v3, v7 neg_lo:[0,1] neg_hi:[0,1]
	v_lshrrev_b32_e32 v9, 16, v28
	v_lshrrev_b32_e32 v31, 16, v10
	;; [unrolled: 1-line block ×3, first 2 shown]
	ds_write2_b32 v6, v10, v11 offset0:3 offset1:4
	v_lshrrev_b32_e32 v33, 16, v12
	ds_write2_b32 v6, v27, v12 offset1:5
	s_waitcnt lgkmcnt(0)
	s_barrier
	buffer_gl0_inv
	s_and_saveexec_b32 s1, s0
	s_cbranch_execnz .LBB0_13
; %bb.11:
	s_or_b32 exec_lo, exec_lo, s1
	s_and_b32 s0, vcc_lo, s0
	s_and_saveexec_b32 s1, s0
	s_cbranch_execnz .LBB0_14
.LBB0_12:
	s_endpgm
.LBB0_13:
	v_lshlrev_b32_e32 v1, 2, v1
	v_mul_i32_i24_e32 v2, 0xffffffec, v26
	v_add3_u32 v0, v0, v2, v1
	v_lshlrev_b32_e32 v2, 2, v26
	ds_read2_b32 v[14:15], v0 offset0:42 offset1:48
	ds_read2_b32 v[16:17], v0 offset0:54 offset1:60
	;; [unrolled: 1-line block ×5, first 2 shown]
	v_add3_u32 v0, 0, v1, v2
	ds_read_b32 v27, v0
	s_waitcnt lgkmcnt(5)
	v_lshrrev_b32_e32 v32, 16, v15
	s_waitcnt lgkmcnt(4)
	v_lshrrev_b32_e32 v34, 16, v16
	v_lshrrev_b32_e32 v35, 16, v17
	s_waitcnt lgkmcnt(3)
	v_lshrrev_b32_e32 v28, 16, v8
	;; [unrolled: 3-line block ×4, first 2 shown]
	v_lshrrev_b32_e32 v36, 16, v13
	v_lshrrev_b32_e32 v37, 16, v14
	s_or_b32 exec_lo, exec_lo, s1
	s_and_b32 s0, vcc_lo, s0
	s_and_saveexec_b32 s1, s0
	s_cbranch_execz .LBB0_12
.LBB0_14:
	v_mul_u32_u24_e32 v0, 10, v26
	v_add_nc_u32_e32 v38, 6, v26
	v_add_nc_u32_e32 v39, 12, v26
	;; [unrolled: 1-line block ×3, first 2 shown]
	v_mad_u64_u32 v[24:25], null, s2, v26, 0
	v_lshlrev_b32_e32 v4, 2, v0
	v_mad_u64_u32 v[40:41], null, s2, v38, 0
	v_mad_u64_u32 v[42:43], null, s2, v39, 0
	s_clause 0x2
	global_load_dwordx2 v[18:19], v4, s[8:9] offset:32
	global_load_dwordx4 v[0:3], v4, s[8:9]
	global_load_dwordx4 v[4:7], v4, s[8:9] offset:16
	v_mad_u64_u32 v[44:45], null, s2, v49, 0
	v_or_b32_e32 v50, 24, v26
	v_mad_u64_u32 v[46:47], null, s3, v26, v[25:26]
	v_mov_b32_e32 v25, v41
	v_mov_b32_e32 v41, v43
	v_mad_u64_u32 v[20:21], null, s2, v50, 0
	v_mov_b32_e32 v43, v45
	v_mad_u64_u32 v[47:48], null, s3, v38, v[25:26]
	v_add_co_u32 v22, vcc_lo, s12, v22
	v_mad_u64_u32 v[38:39], null, s3, v39, v[41:42]
	v_mad_u64_u32 v[48:49], null, s3, v49, v[43:44]
	;; [unrolled: 1-line block ×3, first 2 shown]
	v_mov_b32_e32 v41, v47
	v_mov_b32_e32 v25, v46
	;; [unrolled: 1-line block ×3, first 2 shown]
	v_add_nc_u32_e32 v52, 30, v26
	v_mov_b32_e32 v45, v48
	v_lshlrev_b64 v[38:39], 2, v[40:41]
	v_mov_b32_e32 v21, v49
	v_lshlrev_b64 v[40:41], 2, v[42:43]
	v_lshlrev_b64 v[24:25], 2, v[24:25]
	;; [unrolled: 1-line block ×3, first 2 shown]
	v_add_co_ci_u32_e32 v23, vcc_lo, s13, v23, vcc_lo
	v_mad_u64_u32 v[50:51], null, s2, v52, 0
	v_add_co_u32 v24, vcc_lo, v22, v24
	v_add_co_ci_u32_e32 v25, vcc_lo, v23, v25, vcc_lo
	v_add_co_u32 v38, vcc_lo, v22, v38
	v_add_co_ci_u32_e32 v39, vcc_lo, v23, v39, vcc_lo
	;; [unrolled: 2-line block ×3, first 2 shown]
	s_waitcnt vmcnt(2)
	v_mul_f16_sdwa v44, v17, v19 dst_sel:DWORD dst_unused:UNUSED_PAD src0_sel:DWORD src1_sel:WORD_1
	s_waitcnt vmcnt(1)
	v_mul_f16_sdwa v45, v8, v0 dst_sel:DWORD dst_unused:UNUSED_PAD src0_sel:DWORD src1_sel:WORD_1
	v_mul_f16_sdwa v46, v28, v0 dst_sel:DWORD dst_unused:UNUSED_PAD src0_sel:DWORD src1_sel:WORD_1
	;; [unrolled: 1-line block ×5, first 2 shown]
	s_waitcnt vmcnt(0)
	v_mul_f16_sdwa v55, v15, v7 dst_sel:DWORD dst_unused:UNUSED_PAD src0_sel:DWORD src1_sel:WORD_1
	v_mul_f16_sdwa v56, v10, v2 dst_sel:DWORD dst_unused:UNUSED_PAD src0_sel:DWORD src1_sel:WORD_1
	;; [unrolled: 1-line block ×14, first 2 shown]
	v_fma_f16 v35, v35, v19, -v44
	v_fma_f16 v28, v28, v0, -v45
	;; [unrolled: 1-line block ×4, first 2 shown]
	v_fmac_f16_e32 v46, v8, v0
	v_fmac_f16_e32 v53, v9, v1
	v_fma_f16 v0, v32, v7, -v55
	v_fma_f16 v1, v31, v2, -v56
	v_fmac_f16_e32 v57, v10, v2
	v_fmac_f16_e32 v58, v15, v7
	v_fma_f16 v2, v37, v6, -v59
	v_fma_f16 v7, v30, v3, -v60
	;; [unrolled: 4-line block ×3, first 2 shown]
	v_fmac_f16_e32 v47, v17, v19
	v_fmac_f16_e32 v54, v16, v18
	;; [unrolled: 1-line block ×4, first 2 shown]
	v_add_f16_e32 v4, v35, v28
	v_add_f16_e32 v8, v34, v29
	;; [unrolled: 1-line block ×5, first 2 shown]
	v_sub_f16_e32 v16, v28, v35
	s_waitcnt lgkmcnt(0)
	v_add_f16_sdwa v18, v27, v28 dst_sel:DWORD dst_unused:UNUSED_PAD src0_sel:WORD_1 src1_sel:DWORD
	v_add_f16_e32 v19, v27, v46
	v_sub_f16_e32 v5, v46, v47
	v_sub_f16_e32 v10, v53, v54
	;; [unrolled: 1-line block ×5, first 2 shown]
	v_add_f16_e32 v17, v47, v46
	v_sub_f16_e32 v28, v29, v34
	v_sub_f16_e32 v31, v1, v0
	v_sub_f16_e32 v33, v7, v2
	v_sub_f16_e32 v37, v6, v3
	v_mul_f16_e32 v45, 0xbbad, v4
	v_mul_f16_e32 v46, 0x3abb, v8
	;; [unrolled: 1-line block ×28, first 2 shown]
	v_add_f16_e32 v18, v18, v29
	v_add_f16_e32 v19, v19, v53
	;; [unrolled: 1-line block ×6, first 2 shown]
	v_mul_f16_e32 v80, 0xbb47, v16
	v_mul_f16_e32 v16, 0xb853, v16
	;; [unrolled: 1-line block ×22, first 2 shown]
	v_fmamk_f16 v95, v5, 0x3482, v45
	v_fmamk_f16 v96, v10, 0xb853, v46
	;; [unrolled: 1-line block ×9, first 2 shown]
	v_fmac_f16_e32 v45, 0xb482, v5
	v_fmac_f16_e32 v49, 0xba0c, v5
	;; [unrolled: 1-line block ×5, first 2 shown]
	v_fmamk_f16 v5, v10, 0x3b47, v8
	v_fmac_f16_e32 v46, 0x3853, v10
	v_fmac_f16_e32 v55, 0x3beb, v10
	;; [unrolled: 1-line block ×5, first 2 shown]
	v_fmamk_f16 v10, v11, 0x3a0c, v48
	v_fmac_f16_e32 v48, 0xba0c, v11
	v_fmamk_f16 v104, v11, 0x3853, v56
	v_fmac_f16_e32 v56, 0xb853, v11
	;; [unrolled: 2-line block ×15, first 2 shown]
	v_fmamk_f16 v15, v17, 0xbbad, v77
	v_fmamk_f16 v116, v17, 0xb93d, v78
	;; [unrolled: 1-line block ×3, first 2 shown]
	v_add_f16_e32 v1, v18, v1
	v_add_f16_e32 v18, v19, v57
	v_fma_f16 v77, v17, 0xbbad, -v77
	v_fma_f16 v78, v17, 0xb93d, -v78
	;; [unrolled: 1-line block ×3, first 2 shown]
	v_fmamk_f16 v118, v17, 0x36a6, v80
	v_fma_f16 v80, v17, 0x36a6, -v80
	v_fmamk_f16 v119, v17, 0x3abb, v16
	v_fma_f16 v16, v17, 0x3abb, -v16
	;; [unrolled: 2-line block ×22, first 2 shown]
	v_add_f16_e32 v18, v18, v61
	v_add_f16_e32 v1, v1, v7
	v_add_f16_sdwa v7, v27, v95 dst_sel:DWORD dst_unused:UNUSED_PAD src0_sel:WORD_1 src1_sel:DWORD
	v_add_f16_e32 v15, v27, v15
	v_add_f16_sdwa v44, v27, v97 dst_sel:DWORD dst_unused:UNUSED_PAD src0_sel:WORD_1 src1_sel:DWORD
	v_add_f16_e32 v61, v27, v116
	v_add_f16_e32 v97, v27, v117
	v_add_f16_sdwa v95, v27, v99 dst_sel:DWORD dst_unused:UNUSED_PAD src0_sel:WORD_1 src1_sel:DWORD
	v_add_f16_sdwa v99, v27, v101 dst_sel:DWORD dst_unused:UNUSED_PAD src0_sel:WORD_1 src1_sel:DWORD
	v_add_f16_e32 v101, v27, v118
	v_add_f16_sdwa v103, v27, v103 dst_sel:DWORD dst_unused:UNUSED_PAD src0_sel:WORD_1 src1_sel:DWORD
	v_add_f16_e32 v116, v27, v119
	;; [unrolled: 2-line block ×7, first 2 shown]
	v_add_f16_e32 v7, v7, v96
	v_add_f16_e32 v15, v15, v17
	;; [unrolled: 1-line block ×73, first 2 shown]
	v_pack_b32_f16 v0, v2, v0
	v_pack_b32_f16 v2, v17, v5
	v_add_f16_e32 v6, v29, v70
	v_add_f16_e32 v28, v30, v88
	;; [unrolled: 1-line block ×8, first 2 shown]
	global_store_dword v[24:25], v0, off
	global_store_dword v[38:39], v2, off
	v_mov_b32_e32 v2, v51
	v_add_co_u32 v3, vcc_lo, v22, v42
	v_add_f16_e32 v27, v6, v74
	v_add_f16_e32 v16, v28, v92
	;; [unrolled: 1-line block ×6, first 2 shown]
	v_pack_b32_f16 v8, v1, v15
	v_lshlrev_b64 v[0:1], 2, v[20:21]
	v_mad_u64_u32 v[5:6], null, s3, v52, v[2:3]
	v_add_f16_e32 v14, v4, v14
	v_add_co_ci_u32_e32 v4, vcc_lo, v23, v43, vcc_lo
	v_add_co_u32 v0, vcc_lo, v22, v0
	v_pack_b32_f16 v2, v11, v10
	global_store_dword v[40:41], v8, off
	v_add_nc_u32_e32 v8, 36, v26
	v_add_nc_u32_e32 v10, 42, v26
	v_add_co_ci_u32_e32 v1, vcc_lo, v23, v1, vcc_lo
	v_pack_b32_f16 v6, v9, v7
	v_mov_b32_e32 v51, v5
	v_or_b32_e32 v15, 48, v26
	global_store_dword v[3:4], v2, off
	v_mad_u64_u32 v[2:3], null, s2, v8, 0
	v_mad_u64_u32 v[4:5], null, s2, v10, 0
	global_store_dword v[0:1], v6, off
	v_lshlrev_b64 v[0:1], 2, v[50:51]
	v_mad_u64_u32 v[6:7], null, s2, v15, 0
	v_pack_b32_f16 v12, v13, v12
	v_add_nc_u32_e32 v13, 54, v26
	v_mad_u64_u32 v[8:9], null, s3, v8, v[3:4]
	v_add_co_u32 v0, vcc_lo, v22, v0
	v_add_co_ci_u32_e32 v1, vcc_lo, v23, v1, vcc_lo
	v_mad_u64_u32 v[9:10], null, s3, v10, v[5:6]
	v_mov_b32_e32 v5, v7
	v_mad_u64_u32 v[10:11], null, s2, v13, 0
	global_store_dword v[0:1], v12, off
	v_add_nc_u32_e32 v12, 60, v26
	v_mov_b32_e32 v3, v8
	v_mad_u64_u32 v[7:8], null, s3, v15, v[5:6]
	v_mov_b32_e32 v5, v9
	v_mad_u64_u32 v[8:9], null, s2, v12, 0
	v_lshlrev_b64 v[0:1], 2, v[2:3]
	v_mov_b32_e32 v2, v11
	v_lshlrev_b64 v[4:5], 2, v[4:5]
	v_add_f16_e32 v59, v80, v82
	v_lshlrev_b64 v[6:7], 2, v[6:7]
	v_pack_b32_f16 v15, v19, v18
	v_mad_u64_u32 v[2:3], null, s3, v13, v[2:3]
	v_mov_b32_e32 v3, v9
	v_add_f16_e32 v49, v59, v86
	v_add_co_u32 v0, vcc_lo, v22, v0
	v_add_co_ci_u32_e32 v1, vcc_lo, v23, v1, vcc_lo
	v_mad_u64_u32 v[12:13], null, s3, v12, v[3:4]
	v_mov_b32_e32 v11, v2
	v_add_co_u32 v2, vcc_lo, v22, v4
	v_add_f16_e32 v32, v49, v90
	v_add_co_ci_u32_e32 v3, vcc_lo, v23, v5, vcc_lo
	v_mov_b32_e32 v9, v12
	v_lshlrev_b64 v[4:5], 2, v[10:11]
	v_add_co_u32 v6, vcc_lo, v22, v6
	v_add_f16_e32 v17, v32, v94
	v_lshlrev_b64 v[8:9], 2, v[8:9]
	v_add_co_ci_u32_e32 v7, vcc_lo, v23, v7, vcc_lo
	v_add_co_u32 v4, vcc_lo, v22, v4
	v_pack_b32_f16 v13, v16, v27
	v_add_co_ci_u32_e32 v5, vcc_lo, v23, v5, vcc_lo
	v_pack_b32_f16 v10, v29, v28
	v_add_co_u32 v8, vcc_lo, v22, v8
	v_pack_b32_f16 v11, v17, v30
	v_add_co_ci_u32_e32 v9, vcc_lo, v23, v9, vcc_lo
	v_pack_b32_f16 v12, v31, v14
	global_store_dword v[0:1], v15, off
	global_store_dword v[2:3], v13, off
	;; [unrolled: 1-line block ×5, first 2 shown]
	s_endpgm
	.section	.rodata,"a",@progbits
	.p2align	6, 0x0
	.amdhsa_kernel fft_rtc_back_len66_factors_6_11_wgs_253_tpt_11_half_ip_CI_sbrr_dirReg
		.amdhsa_group_segment_fixed_size 0
		.amdhsa_private_segment_fixed_size 0
		.amdhsa_kernarg_size 88
		.amdhsa_user_sgpr_count 6
		.amdhsa_user_sgpr_private_segment_buffer 1
		.amdhsa_user_sgpr_dispatch_ptr 0
		.amdhsa_user_sgpr_queue_ptr 0
		.amdhsa_user_sgpr_kernarg_segment_ptr 1
		.amdhsa_user_sgpr_dispatch_id 0
		.amdhsa_user_sgpr_flat_scratch_init 0
		.amdhsa_user_sgpr_private_segment_size 0
		.amdhsa_wavefront_size32 1
		.amdhsa_uses_dynamic_stack 0
		.amdhsa_system_sgpr_private_segment_wavefront_offset 0
		.amdhsa_system_sgpr_workgroup_id_x 1
		.amdhsa_system_sgpr_workgroup_id_y 0
		.amdhsa_system_sgpr_workgroup_id_z 0
		.amdhsa_system_sgpr_workgroup_info 0
		.amdhsa_system_vgpr_workitem_id 0
		.amdhsa_next_free_vgpr 134
		.amdhsa_next_free_sgpr 23
		.amdhsa_reserve_vcc 1
		.amdhsa_reserve_flat_scratch 0
		.amdhsa_float_round_mode_32 0
		.amdhsa_float_round_mode_16_64 0
		.amdhsa_float_denorm_mode_32 3
		.amdhsa_float_denorm_mode_16_64 3
		.amdhsa_dx10_clamp 1
		.amdhsa_ieee_mode 1
		.amdhsa_fp16_overflow 0
		.amdhsa_workgroup_processor_mode 1
		.amdhsa_memory_ordered 1
		.amdhsa_forward_progress 0
		.amdhsa_shared_vgpr_count 0
		.amdhsa_exception_fp_ieee_invalid_op 0
		.amdhsa_exception_fp_denorm_src 0
		.amdhsa_exception_fp_ieee_div_zero 0
		.amdhsa_exception_fp_ieee_overflow 0
		.amdhsa_exception_fp_ieee_underflow 0
		.amdhsa_exception_fp_ieee_inexact 0
		.amdhsa_exception_int_div_zero 0
	.end_amdhsa_kernel
	.text
.Lfunc_end0:
	.size	fft_rtc_back_len66_factors_6_11_wgs_253_tpt_11_half_ip_CI_sbrr_dirReg, .Lfunc_end0-fft_rtc_back_len66_factors_6_11_wgs_253_tpt_11_half_ip_CI_sbrr_dirReg
                                        ; -- End function
	.section	.AMDGPU.csdata,"",@progbits
; Kernel info:
; codeLenInByte = 5088
; NumSgprs: 25
; NumVgprs: 134
; ScratchSize: 0
; MemoryBound: 0
; FloatMode: 240
; IeeeMode: 1
; LDSByteSize: 0 bytes/workgroup (compile time only)
; SGPRBlocks: 3
; VGPRBlocks: 16
; NumSGPRsForWavesPerEU: 25
; NumVGPRsForWavesPerEU: 134
; Occupancy: 7
; WaveLimiterHint : 1
; COMPUTE_PGM_RSRC2:SCRATCH_EN: 0
; COMPUTE_PGM_RSRC2:USER_SGPR: 6
; COMPUTE_PGM_RSRC2:TRAP_HANDLER: 0
; COMPUTE_PGM_RSRC2:TGID_X_EN: 1
; COMPUTE_PGM_RSRC2:TGID_Y_EN: 0
; COMPUTE_PGM_RSRC2:TGID_Z_EN: 0
; COMPUTE_PGM_RSRC2:TIDIG_COMP_CNT: 0
	.text
	.p2alignl 6, 3214868480
	.fill 48, 4, 3214868480
	.type	__hip_cuid_179cfb85d1393ac5,@object ; @__hip_cuid_179cfb85d1393ac5
	.section	.bss,"aw",@nobits
	.globl	__hip_cuid_179cfb85d1393ac5
__hip_cuid_179cfb85d1393ac5:
	.byte	0                               ; 0x0
	.size	__hip_cuid_179cfb85d1393ac5, 1

	.ident	"AMD clang version 19.0.0git (https://github.com/RadeonOpenCompute/llvm-project roc-6.4.0 25133 c7fe45cf4b819c5991fe208aaa96edf142730f1d)"
	.section	".note.GNU-stack","",@progbits
	.addrsig
	.addrsig_sym __hip_cuid_179cfb85d1393ac5
	.amdgpu_metadata
---
amdhsa.kernels:
  - .args:
      - .actual_access:  read_only
        .address_space:  global
        .offset:         0
        .size:           8
        .value_kind:     global_buffer
      - .offset:         8
        .size:           8
        .value_kind:     by_value
      - .actual_access:  read_only
        .address_space:  global
        .offset:         16
        .size:           8
        .value_kind:     global_buffer
      - .actual_access:  read_only
        .address_space:  global
        .offset:         24
        .size:           8
        .value_kind:     global_buffer
      - .offset:         32
        .size:           8
        .value_kind:     by_value
      - .actual_access:  read_only
        .address_space:  global
        .offset:         40
        .size:           8
        .value_kind:     global_buffer
      - .actual_access:  read_only
        .address_space:  global
        .offset:         48
        .size:           8
        .value_kind:     global_buffer
      - .offset:         56
        .size:           4
        .value_kind:     by_value
      - .actual_access:  read_only
        .address_space:  global
        .offset:         64
        .size:           8
        .value_kind:     global_buffer
      - .actual_access:  read_only
        .address_space:  global
        .offset:         72
        .size:           8
        .value_kind:     global_buffer
      - .address_space:  global
        .offset:         80
        .size:           8
        .value_kind:     global_buffer
    .group_segment_fixed_size: 0
    .kernarg_segment_align: 8
    .kernarg_segment_size: 88
    .language:       OpenCL C
    .language_version:
      - 2
      - 0
    .max_flat_workgroup_size: 253
    .name:           fft_rtc_back_len66_factors_6_11_wgs_253_tpt_11_half_ip_CI_sbrr_dirReg
    .private_segment_fixed_size: 0
    .sgpr_count:     25
    .sgpr_spill_count: 0
    .symbol:         fft_rtc_back_len66_factors_6_11_wgs_253_tpt_11_half_ip_CI_sbrr_dirReg.kd
    .uniform_work_group_size: 1
    .uses_dynamic_stack: false
    .vgpr_count:     134
    .vgpr_spill_count: 0
    .wavefront_size: 32
    .workgroup_processor_mode: 1
amdhsa.target:   amdgcn-amd-amdhsa--gfx1030
amdhsa.version:
  - 1
  - 2
...

	.end_amdgpu_metadata
